;; amdgpu-corpus repo=ROCm/rocFFT kind=compiled arch=gfx906 opt=O3
	.text
	.amdgcn_target "amdgcn-amd-amdhsa--gfx906"
	.amdhsa_code_object_version 6
	.protected	fft_rtc_back_len22_factors_11_2_wgs_64_tpt_2_halfLds_half_ip_CI_unitstride_sbrr_dirReg ; -- Begin function fft_rtc_back_len22_factors_11_2_wgs_64_tpt_2_halfLds_half_ip_CI_unitstride_sbrr_dirReg
	.globl	fft_rtc_back_len22_factors_11_2_wgs_64_tpt_2_halfLds_half_ip_CI_unitstride_sbrr_dirReg
	.p2align	8
	.type	fft_rtc_back_len22_factors_11_2_wgs_64_tpt_2_halfLds_half_ip_CI_unitstride_sbrr_dirReg,@function
fft_rtc_back_len22_factors_11_2_wgs_64_tpt_2_halfLds_half_ip_CI_unitstride_sbrr_dirReg: ; @fft_rtc_back_len22_factors_11_2_wgs_64_tpt_2_halfLds_half_ip_CI_unitstride_sbrr_dirReg
; %bb.0:
	s_load_dwordx2 s[2:3], s[4:5], 0x50
	s_load_dwordx4 s[8:11], s[4:5], 0x0
	s_load_dwordx2 s[12:13], s[4:5], 0x18
	v_lshrrev_b32_e32 v9, 1, v0
	v_mov_b32_e32 v3, 0
	v_mov_b32_e32 v1, 0
	s_waitcnt lgkmcnt(0)
	v_cmp_lt_u64_e64 s[0:1], s[10:11], 2
	v_lshl_or_b32 v5, s6, 5, v9
	v_mov_b32_e32 v6, v3
	s_and_b64 vcc, exec, s[0:1]
	v_mov_b32_e32 v2, 0
	s_cbranch_vccnz .LBB0_8
; %bb.1:
	s_load_dwordx2 s[0:1], s[4:5], 0x10
	s_add_u32 s6, s12, 8
	s_addc_u32 s7, s13, 0
	v_mov_b32_e32 v1, 0
	v_mov_b32_e32 v2, 0
	s_waitcnt lgkmcnt(0)
	s_add_u32 s14, s0, 8
	s_addc_u32 s15, s1, 0
	s_mov_b64 s[16:17], 1
.LBB0_2:                                ; =>This Inner Loop Header: Depth=1
	s_load_dwordx2 s[18:19], s[14:15], 0x0
                                        ; implicit-def: $vgpr7_vgpr8
	s_waitcnt lgkmcnt(0)
	v_or_b32_e32 v4, s19, v6
	v_cmp_ne_u64_e32 vcc, 0, v[3:4]
	s_and_saveexec_b64 s[0:1], vcc
	s_xor_b64 s[20:21], exec, s[0:1]
	s_cbranch_execz .LBB0_4
; %bb.3:                                ;   in Loop: Header=BB0_2 Depth=1
	v_cvt_f32_u32_e32 v4, s18
	v_cvt_f32_u32_e32 v7, s19
	s_sub_u32 s0, 0, s18
	s_subb_u32 s1, 0, s19
	v_mac_f32_e32 v4, 0x4f800000, v7
	v_rcp_f32_e32 v4, v4
	v_mul_f32_e32 v4, 0x5f7ffffc, v4
	v_mul_f32_e32 v7, 0x2f800000, v4
	v_trunc_f32_e32 v7, v7
	v_mac_f32_e32 v4, 0xcf800000, v7
	v_cvt_u32_f32_e32 v7, v7
	v_cvt_u32_f32_e32 v4, v4
	v_mul_lo_u32 v8, s0, v7
	v_mul_hi_u32 v10, s0, v4
	v_mul_lo_u32 v12, s1, v4
	v_mul_lo_u32 v11, s0, v4
	v_add_u32_e32 v8, v10, v8
	v_add_u32_e32 v8, v8, v12
	v_mul_hi_u32 v10, v4, v11
	v_mul_lo_u32 v12, v4, v8
	v_mul_hi_u32 v14, v4, v8
	v_mul_hi_u32 v13, v7, v11
	v_mul_lo_u32 v11, v7, v11
	v_mul_hi_u32 v15, v7, v8
	v_add_co_u32_e32 v10, vcc, v10, v12
	v_addc_co_u32_e32 v12, vcc, 0, v14, vcc
	v_mul_lo_u32 v8, v7, v8
	v_add_co_u32_e32 v10, vcc, v10, v11
	v_addc_co_u32_e32 v10, vcc, v12, v13, vcc
	v_addc_co_u32_e32 v11, vcc, 0, v15, vcc
	v_add_co_u32_e32 v8, vcc, v10, v8
	v_addc_co_u32_e32 v10, vcc, 0, v11, vcc
	v_add_co_u32_e32 v4, vcc, v4, v8
	v_addc_co_u32_e32 v7, vcc, v7, v10, vcc
	v_mul_lo_u32 v8, s0, v7
	v_mul_hi_u32 v10, s0, v4
	v_mul_lo_u32 v11, s1, v4
	v_mul_lo_u32 v12, s0, v4
	v_add_u32_e32 v8, v10, v8
	v_add_u32_e32 v8, v8, v11
	v_mul_lo_u32 v13, v4, v8
	v_mul_hi_u32 v14, v4, v12
	v_mul_hi_u32 v15, v4, v8
	;; [unrolled: 1-line block ×3, first 2 shown]
	v_mul_lo_u32 v12, v7, v12
	v_mul_hi_u32 v10, v7, v8
	v_add_co_u32_e32 v13, vcc, v14, v13
	v_addc_co_u32_e32 v14, vcc, 0, v15, vcc
	v_mul_lo_u32 v8, v7, v8
	v_add_co_u32_e32 v12, vcc, v13, v12
	v_addc_co_u32_e32 v11, vcc, v14, v11, vcc
	v_addc_co_u32_e32 v10, vcc, 0, v10, vcc
	v_add_co_u32_e32 v8, vcc, v11, v8
	v_addc_co_u32_e32 v10, vcc, 0, v10, vcc
	v_add_co_u32_e32 v4, vcc, v4, v8
	v_addc_co_u32_e32 v10, vcc, v7, v10, vcc
	v_mad_u64_u32 v[7:8], s[0:1], v5, v10, 0
	v_mul_hi_u32 v11, v5, v4
	v_add_co_u32_e32 v12, vcc, v11, v7
	v_addc_co_u32_e32 v13, vcc, 0, v8, vcc
	v_mad_u64_u32 v[7:8], s[0:1], v6, v4, 0
	v_mad_u64_u32 v[10:11], s[0:1], v6, v10, 0
	v_add_co_u32_e32 v4, vcc, v12, v7
	v_addc_co_u32_e32 v4, vcc, v13, v8, vcc
	v_addc_co_u32_e32 v7, vcc, 0, v11, vcc
	v_add_co_u32_e32 v4, vcc, v4, v10
	v_addc_co_u32_e32 v10, vcc, 0, v7, vcc
	v_mul_lo_u32 v11, s19, v4
	v_mul_lo_u32 v12, s18, v10
	v_mad_u64_u32 v[7:8], s[0:1], s18, v4, 0
	v_add3_u32 v8, v8, v12, v11
	v_sub_u32_e32 v11, v6, v8
	v_mov_b32_e32 v12, s19
	v_sub_co_u32_e32 v7, vcc, v5, v7
	v_subb_co_u32_e64 v11, s[0:1], v11, v12, vcc
	v_subrev_co_u32_e64 v12, s[0:1], s18, v7
	v_subbrev_co_u32_e64 v11, s[0:1], 0, v11, s[0:1]
	v_cmp_le_u32_e64 s[0:1], s19, v11
	v_cndmask_b32_e64 v13, 0, -1, s[0:1]
	v_cmp_le_u32_e64 s[0:1], s18, v12
	v_cndmask_b32_e64 v12, 0, -1, s[0:1]
	v_cmp_eq_u32_e64 s[0:1], s19, v11
	v_cndmask_b32_e64 v11, v13, v12, s[0:1]
	v_add_co_u32_e64 v12, s[0:1], 2, v4
	v_addc_co_u32_e64 v13, s[0:1], 0, v10, s[0:1]
	v_add_co_u32_e64 v14, s[0:1], 1, v4
	v_addc_co_u32_e64 v15, s[0:1], 0, v10, s[0:1]
	v_subb_co_u32_e32 v8, vcc, v6, v8, vcc
	v_cmp_ne_u32_e64 s[0:1], 0, v11
	v_cmp_le_u32_e32 vcc, s19, v8
	v_cndmask_b32_e64 v11, v15, v13, s[0:1]
	v_cndmask_b32_e64 v13, 0, -1, vcc
	v_cmp_le_u32_e32 vcc, s18, v7
	v_cndmask_b32_e64 v7, 0, -1, vcc
	v_cmp_eq_u32_e32 vcc, s19, v8
	v_cndmask_b32_e32 v7, v13, v7, vcc
	v_cmp_ne_u32_e32 vcc, 0, v7
	v_cndmask_b32_e64 v7, v14, v12, s[0:1]
	v_cndmask_b32_e32 v8, v10, v11, vcc
	v_cndmask_b32_e32 v7, v4, v7, vcc
.LBB0_4:                                ;   in Loop: Header=BB0_2 Depth=1
	s_andn2_saveexec_b64 s[0:1], s[20:21]
	s_cbranch_execz .LBB0_6
; %bb.5:                                ;   in Loop: Header=BB0_2 Depth=1
	v_cvt_f32_u32_e32 v4, s18
	s_sub_i32 s20, 0, s18
	v_rcp_iflag_f32_e32 v4, v4
	v_mul_f32_e32 v4, 0x4f7ffffe, v4
	v_cvt_u32_f32_e32 v4, v4
	v_mul_lo_u32 v7, s20, v4
	v_mul_hi_u32 v7, v4, v7
	v_add_u32_e32 v4, v4, v7
	v_mul_hi_u32 v4, v5, v4
	v_mul_lo_u32 v7, v4, s18
	v_add_u32_e32 v8, 1, v4
	v_sub_u32_e32 v7, v5, v7
	v_subrev_u32_e32 v10, s18, v7
	v_cmp_le_u32_e32 vcc, s18, v7
	v_cndmask_b32_e32 v7, v7, v10, vcc
	v_cndmask_b32_e32 v4, v4, v8, vcc
	v_add_u32_e32 v8, 1, v4
	v_cmp_le_u32_e32 vcc, s18, v7
	v_cndmask_b32_e32 v7, v4, v8, vcc
	v_mov_b32_e32 v8, v3
.LBB0_6:                                ;   in Loop: Header=BB0_2 Depth=1
	s_or_b64 exec, exec, s[0:1]
	v_mul_lo_u32 v4, v8, s18
	v_mul_lo_u32 v12, v7, s19
	v_mad_u64_u32 v[10:11], s[0:1], v7, s18, 0
	s_load_dwordx2 s[0:1], s[6:7], 0x0
	s_add_u32 s16, s16, 1
	v_add3_u32 v4, v11, v12, v4
	v_sub_co_u32_e32 v5, vcc, v5, v10
	v_subb_co_u32_e32 v4, vcc, v6, v4, vcc
	s_waitcnt lgkmcnt(0)
	v_mul_lo_u32 v4, s0, v4
	v_mul_lo_u32 v6, s1, v5
	v_mad_u64_u32 v[1:2], s[0:1], s0, v5, v[1:2]
	s_addc_u32 s17, s17, 0
	s_add_u32 s6, s6, 8
	v_add3_u32 v2, v6, v2, v4
	v_mov_b32_e32 v4, s10
	v_mov_b32_e32 v5, s11
	s_addc_u32 s7, s7, 0
	v_cmp_ge_u64_e32 vcc, s[16:17], v[4:5]
	s_add_u32 s14, s14, 8
	s_addc_u32 s15, s15, 0
	s_cbranch_vccnz .LBB0_9
; %bb.7:                                ;   in Loop: Header=BB0_2 Depth=1
	v_mov_b32_e32 v5, v7
	v_mov_b32_e32 v6, v8
	s_branch .LBB0_2
.LBB0_8:
	v_mov_b32_e32 v8, v6
	v_mov_b32_e32 v7, v5
.LBB0_9:
	s_lshl_b64 s[0:1], s[10:11], 3
	s_add_u32 s0, s12, s0
	s_addc_u32 s1, s13, s1
	s_load_dwordx2 s[6:7], s[0:1], 0x0
	s_load_dwordx2 s[10:11], s[4:5], 0x20
	v_and_b32_e32 v11, 1, v0
	v_or_b32_e32 v0, 2, v11
	v_or_b32_e32 v6, 6, v11
	s_waitcnt lgkmcnt(0)
	v_mul_lo_u32 v4, s6, v8
	v_mul_lo_u32 v5, s7, v7
	v_mad_u64_u32 v[2:3], s[0:1], s6, v7, v[1:2]
	v_cmp_gt_u64_e32 vcc, s[10:11], v[7:8]
	v_cmp_le_u64_e64 s[0:1], s[10:11], v[7:8]
	v_add3_u32 v3, v5, v3, v4
	v_or_b32_e32 v5, 4, v11
	v_or_b32_e32 v1, 8, v11
                                        ; implicit-def: $sgpr6
	s_and_saveexec_b64 s[4:5], s[0:1]
	s_xor_b64 s[0:1], exec, s[4:5]
; %bb.10:
	v_or_b32_e32 v0, 2, v11
	v_or_b32_e32 v5, 4, v11
	;; [unrolled: 1-line block ×4, first 2 shown]
	s_mov_b32 s6, 0
; %bb.11:
	s_or_saveexec_b64 s[4:5], s[0:1]
	v_lshlrev_b64 v[3:4], 2, v[2:3]
	v_mov_b32_e32 v7, s6
	v_lshlrev_b32_e32 v10, 2, v11
                                        ; implicit-def: $vgpr24
                                        ; implicit-def: $vgpr2
                                        ; implicit-def: $vgpr23
                                        ; implicit-def: $vgpr8
                                        ; implicit-def: $vgpr22
                                        ; implicit-def: $vgpr13
                                        ; implicit-def: $vgpr19
                                        ; implicit-def: $vgpr14
                                        ; implicit-def: $vgpr18
                                        ; implicit-def: $vgpr15
                                        ; implicit-def: $vgpr20
                                        ; implicit-def: $vgpr16
                                        ; implicit-def: $vgpr25
                                        ; implicit-def: $vgpr17
                                        ; implicit-def: $vgpr27
                                        ; implicit-def: $vgpr21
                                        ; implicit-def: $vgpr29
                                        ; implicit-def: $vgpr26
                                        ; implicit-def: $vgpr30
                                        ; implicit-def: $vgpr28
	s_xor_b64 exec, exec, s[4:5]
	s_cbranch_execz .LBB0_13
; %bb.12:
	v_mov_b32_e32 v2, s3
	v_add_co_u32_e64 v7, s[0:1], s2, v3
	v_addc_co_u32_e64 v2, s[0:1], v2, v4, s[0:1]
	v_add_co_u32_e64 v18, s[0:1], v7, v10
	v_addc_co_u32_e64 v19, s[0:1], 0, v2, s[0:1]
	global_load_dword v2, v[18:19], off offset:8
	global_load_dword v8, v[18:19], off offset:16
	;; [unrolled: 1-line block ×10, first 2 shown]
	global_load_dword v7, v[18:19], off
	s_waitcnt vmcnt(10)
	v_lshrrev_b32_e32 v24, 16, v2
	s_waitcnt vmcnt(9)
	v_lshrrev_b32_e32 v23, 16, v8
	;; [unrolled: 2-line block ×10, first 2 shown]
.LBB0_13:
	s_or_b64 exec, exec, s[4:5]
	v_add_f16_e32 v35, v2, v28
	s_mov_b32 s0, 0xb482
	v_sub_f16_e32 v36, v24, v30
	v_mul_f16_e32 v12, 0xbbad, v35
	v_add_f16_e32 v37, v8, v26
	v_fma_f16 v31, v36, s0, v12
	s_movk_i32 s0, 0x3853
	v_sub_f16_e32 v38, v23, v29
	v_mul_f16_e32 v32, 0x3abb, v37
	s_waitcnt vmcnt(0)
	v_add_f16_e32 v31, v31, v7
	v_fma_f16 v33, v38, s0, v32
	v_add_f16_e32 v39, v13, v21
	v_add_f16_e32 v31, v33, v31
	s_mov_b32 s1, 0xba0c
	v_sub_f16_e32 v40, v22, v27
	v_mul_f16_e32 v33, 0xb93d, v39
	v_fma_f16 v34, v40, s1, v33
	v_add_f16_e32 v42, v14, v17
	v_add_f16_e32 v31, v34, v31
	s_movk_i32 s1, 0x3b47
	v_sub_f16_e32 v43, v19, v25
	v_mul_f16_e32 v34, 0x36a6, v42
	v_fma_f16 v41, v43, s1, v34
	v_add_f16_e32 v44, v15, v16
	v_add_f16_e32 v31, v41, v31
	s_mov_b32 s4, 0xbbeb
	v_sub_f16_e32 v45, v18, v20
	v_mul_f16_e32 v41, 0xb08e, v44
	v_fma_f16 v46, v45, s4, v41
	s_mov_b32 s7, 0x36a63abb
	v_add_f16_e32 v31, v46, v31
	s_mov_b32 s11, 0xbb47b853
	v_pk_mul_f16 v46, v35, s7 op_sel_hi:[0,1]
	s_mov_b32 s10, 0xb93d36a6
	v_pk_fma_f16 v47, v36, s11, v46 op_sel_hi:[0,1,1]
	s_mov_b32 s13, 0xba0cbb47
	v_pk_mul_f16 v48, v37, s10 op_sel_hi:[0,1]
	v_pk_add_f16 v47, v47, v7 op_sel_hi:[1,0]
	v_pk_fma_f16 v49, v38, s13, v48 op_sel_hi:[0,1,1]
	s_mov_b32 s12, 0xbbadb08e
	v_pk_add_f16 v47, v49, v47
	s_mov_b32 s15, 0x3482bbeb
	v_pk_mul_f16 v49, v39, s12 op_sel_hi:[0,1]
	v_pk_fma_f16 v50, v40, s15, v49 op_sel_hi:[0,1,1]
	s_mov_b32 s14, 0xb08eb93d
	v_pk_add_f16 v47, v50, v47
	s_mov_b32 s16, 0x3bebba0c
	v_pk_mul_f16 v50, v42, s14 op_sel_hi:[0,1]
	;; [unrolled: 5-line block ×4, first 2 shown]
	s_mov_b32 s21, 0xb08ebbad
	v_pk_fma_f16 v53, v36, s20, v52 op_sel_hi:[0,1,1]
	s_mov_b32 s22, 0x3beb3482
	v_pk_mul_f16 v54, v37, s21 op_sel_hi:[0,1]
	v_pk_add_f16 v53, v53, v7 op_sel_hi:[1,0]
	v_pk_fma_f16 v55, v38, s22, v54 op_sel_hi:[0,1,1]
	s_mov_b32 s23, 0x3abb36a6
	v_pk_add_f16 v53, v55, v53
	s_mov_b32 s24, 0xb8533b47
	v_pk_mul_f16 v55, v39, s23 op_sel_hi:[0,1]
	v_pk_fma_f16 v56, v40, s24, v55 op_sel_hi:[0,1,1]
	s_mov_b32 s25, 0xbbad3abb
	v_pk_add_f16 v53, v56, v53
	s_mov_b32 s26, 0xb482b853
	v_pk_mul_f16 v56, v42, s25 op_sel_hi:[0,1]
	;; [unrolled: 5-line block ×3, first 2 shown]
	v_pk_fma_f16 v58, v45, s28, v57 op_sel_hi:[0,1,1]
	s_mov_b32 s6, 0xffff
	v_pk_add_f16 v53, v58, v53
	v_bfi_b32 v12, s6, v12, v52
	v_mul_f16_e32 v52, 0xb482, v36
	v_pk_mul_f16 v58, v36, s20 op_sel_hi:[0,1]
	v_bfi_b32 v52, s6, v52, v58
	v_pk_add_f16 v12, v12, v52 neg_lo:[0,1] neg_hi:[0,1]
	v_bfi_b32 v32, s6, v32, v54
	v_mul_f16_e32 v52, 0x3853, v38
	v_pk_mul_f16 v54, v38, s22 op_sel_hi:[0,1]
	v_bfi_b32 v52, s6, v52, v54
	v_pk_add_f16 v32, v32, v52 neg_lo:[0,1] neg_hi:[0,1]
	v_pk_add_f16 v12, v12, v7 op_sel_hi:[1,0]
	v_pk_add_f16 v12, v32, v12
	v_bfi_b32 v32, s6, v33, v55
	v_mul_f16_e32 v33, 0xba0c, v40
	v_pk_mul_f16 v52, v40, s24 op_sel_hi:[0,1]
	v_bfi_b32 v33, s6, v33, v52
	v_pk_add_f16 v32, v32, v33 neg_lo:[0,1] neg_hi:[0,1]
	v_pk_add_f16 v12, v32, v12
	v_bfi_b32 v32, s6, v34, v56
	v_mul_f16_e32 v33, 0x3b47, v43
	v_pk_mul_f16 v34, v43, s26 op_sel_hi:[0,1]
	v_bfi_b32 v33, s6, v33, v34
	v_pk_add_f16 v32, v32, v33 neg_lo:[0,1] neg_hi:[0,1]
	v_mul_f16_e32 v33, 0xbbeb, v45
	v_pk_mul_f16 v34, v45, s28 op_sel_hi:[0,1]
	v_pk_add_f16 v12, v32, v12
	v_bfi_b32 v32, s6, v41, v57
	v_bfi_b32 v33, s6, v33, v34
	v_pk_add_f16 v32, v32, v33 neg_lo:[0,1] neg_hi:[0,1]
	v_pk_add_f16 v34, v32, v12
	v_add_f16_e32 v12, v2, v7
	v_add_f16_e32 v12, v8, v12
	;; [unrolled: 1-line block ×9, first 2 shown]
	v_mul_u32_u24_e32 v9, 22, v9
	v_add_f16_e32 v12, v28, v12
	v_lshl_add_u32 v41, v9, 1, 0
	v_alignbit_b32 v33, v31, v53, 16
	v_alignbit_b32 v32, v53, v47, 16
	v_pack_b32_f16 v31, v12, v47
	v_mad_u32_u24 v9, v11, 22, v41
	v_fma_f16 v12, v36, s0, v46
	ds_write_b128 v9, v[31:34]
	v_add_f16_e32 v12, v12, v7
	v_fma_f16 v31, v38, s1, v48
	s_movk_i32 s0, 0x3beb
	v_add_f16_e32 v12, v31, v12
	v_fma_f16 v31, v40, s0, v49
	s_movk_i32 s0, 0x3a0c
	;; [unrolled: 3-line block ×3, first 2 shown]
	v_add_f16_e32 v12, v31, v12
	v_fma_f16 v31, v45, s0, v51
	s_mov_b32 s0, 0x3b473beb
	v_add_f16_e32 v12, v31, v12
	s_mov_b32 s29, 0x36a6b08e
	v_pk_mul_f16 v31, v36, s0 op_sel_hi:[0,1]
	s_mov_b32 s0, 0x3a0cb482
	v_pk_fma_f16 v31, v35, s29, v31 op_sel_hi:[0,1,1]
	s_mov_b32 s30, 0xb93dbbad
	v_pk_mul_f16 v32, v38, s0 op_sel_hi:[0,1]
	v_pk_fma_f16 v32, v37, s30, v32 op_sel_hi:[0,1,1]
	v_pk_add_f16 v31, v31, v7 op_sel_hi:[1,0]
	s_mov_b32 s0, 0xb482bb47
	v_pk_add_f16 v31, v32, v31
	s_mov_b32 s31, 0xbbad36a6
	v_pk_mul_f16 v32, v40, s0 op_sel_hi:[0,1]
	v_pk_fma_f16 v32, v39, s31, v32 op_sel_hi:[0,1,1]
	s_mov_b32 s0, 0xbbeb3853
	v_pk_add_f16 v31, v32, v31
	s_mov_b32 s33, 0xb08e3abb
	v_pk_mul_f16 v32, v43, s0 op_sel_hi:[0,1]
	v_pk_fma_f16 v32, v42, s33, v32 op_sel_hi:[0,1,1]
	;; [unrolled: 5-line block ×3, first 2 shown]
	v_pk_add_f16 v31, v32, v31
	s_movk_i32 s0, 0xffec
	v_lshl_add_u32 v45, v11, 1, v41
	ds_write_b32 v9, v31 offset:16
	ds_write_b16 v9, v12 offset:20
	s_waitcnt lgkmcnt(0)
	; wave barrier
	s_waitcnt lgkmcnt(0)
	v_mad_i32_i24 v42, v11, s0, v9
	v_lshl_add_u32 v43, v0, 1, v41
	v_lshl_add_u32 v44, v5, 1, v41
	ds_read_u16 v31, v45
	ds_read_u16 v35, v42 offset:22
	ds_read_u16 v36, v42 offset:26
	;; [unrolled: 1-line block ×5, first 2 shown]
	ds_read_u16 v32, v43
	ds_read_u16 v33, v44
	v_lshl_add_u32 v46, v6, 1, v41
	v_lshl_add_u32 v47, v1, 1, v41
	ds_read_u16 v34, v46
	ds_read_u16 v39, v47
	s_mov_b32 s37, 0xbbad
	s_movk_i32 s36, 0x3abb
	s_mov_b32 s38, 0xb93d
	s_movk_i32 s39, 0x36a6
	s_mov_b32 s35, 0xb08e
	v_cmp_eq_u32_e64 s[0:1], 0, v11
                                        ; implicit-def: $vgpr11
	s_and_saveexec_b64 s[4:5], s[0:1]
	s_cbranch_execz .LBB0_15
; %bb.14:
	ds_read_u16 v12, v41 offset:20
	ds_read_u16 v11, v41 offset:42
.LBB0_15:
	s_or_b64 exec, exec, s[4:5]
	v_add_f16_sdwa v48, v24, v7 dst_sel:DWORD dst_unused:UNUSED_PAD src0_sel:DWORD src1_sel:WORD_1
	v_add_f16_e32 v48, v23, v48
	v_add_f16_e32 v48, v22, v48
	;; [unrolled: 1-line block ×8, first 2 shown]
	v_sub_f16_e32 v2, v2, v28
	v_add_f16_e32 v48, v30, v48
	v_add_f16_e32 v24, v24, v30
	v_mul_f16_e32 v30, 0xb482, v2
	v_sub_f16_e32 v8, v8, v26
	v_fma_f16 v49, v24, s37, -v30
	v_add_f16_e32 v23, v23, v29
	v_mul_f16_e32 v29, 0x3853, v8
	v_add_f16_sdwa v49, v49, v7 dst_sel:DWORD dst_unused:UNUSED_PAD src0_sel:DWORD src1_sel:WORD_1
	v_fma_f16 v50, v23, s36, -v29
	v_sub_f16_e32 v21, v13, v21
	v_add_f16_e32 v49, v50, v49
	v_add_f16_e32 v22, v22, v27
	v_mul_f16_e32 v50, 0xba0c, v21
	v_sub_f16_e32 v14, v14, v17
	v_fma_f16 v13, v22, s38, -v50
	v_add_f16_e32 v19, v19, v25
	v_mul_f16_e32 v25, 0x3b47, v14
	v_add_f16_e32 v13, v13, v49
	v_fma_f16 v49, v19, s39, -v25
	v_add_f16_e32 v49, v49, v13
	v_pk_mul_f16 v13, v2, s11 op_sel_hi:[0,1]
	v_add_f16_e32 v18, v18, v20
	v_sub_f16_e32 v15, v15, v16
	v_fma_f16 v16, v24, s36, v13
	v_pk_fma_f16 v13, v24, s7, v13 op_sel_hi:[0,1,1] neg_lo:[0,0,1] neg_hi:[0,0,1]
	v_pk_mul_f16 v20, v8, s13 op_sel_hi:[0,1]
	v_pk_add_f16 v13, v13, v7 op_sel:[0,1]
	v_fma_f16 v51, v23, s39, v20
	v_pk_fma_f16 v20, v23, s10, v20 op_sel_hi:[0,1,1] neg_lo:[0,0,1] neg_hi:[0,0,1]
	v_add_f16_sdwa v16, v16, v7 dst_sel:DWORD dst_unused:UNUSED_PAD src0_sel:DWORD src1_sel:WORD_1
	v_pk_add_f16 v13, v20, v13
	v_pk_mul_f16 v20, v21, s15 op_sel_hi:[0,1]
	v_add_f16_e32 v16, v51, v16
	v_fma_f16 v51, v22, s35, v20
	v_pk_fma_f16 v20, v22, s12, v20 op_sel_hi:[0,1,1] neg_lo:[0,0,1] neg_hi:[0,0,1]
	v_pk_add_f16 v13, v20, v13
	v_pk_mul_f16 v20, v14, s16 op_sel_hi:[0,1]
	v_add_f16_e32 v16, v51, v16
	v_fma_f16 v51, v19, s38, v20
	v_pk_fma_f16 v20, v19, s14, v20 op_sel_hi:[0,1,1] neg_lo:[0,0,1] neg_hi:[0,0,1]
	v_add_f16_e32 v16, v51, v16
	v_pk_add_f16 v20, v20, v13
	v_pk_mul_f16 v13, v18, s17 op_sel_hi:[0,1]
	v_pk_mul_f16 v51, v15, s18 op_sel_hi:[0,1]
	s_mov_b32 s4, 0xbb47bbeb
	v_pk_fma_f16 v52, v18, s17, v51 op_sel_hi:[0,1,1] neg_lo:[0,0,1] neg_hi:[0,0,1]
	v_add_f16_e32 v13, v13, v51
	v_pk_mul_f16 v51, v2, s20 op_sel_hi:[0,1]
	v_pk_mul_f16 v2, v2, s4 op_sel_hi:[0,1]
	s_mov_b32 s4, 0xba0c3482
	v_pk_mul_f16 v54, v8, s22 op_sel_hi:[0,1]
	v_pk_fma_f16 v2, v24, s29, v2 op_sel_hi:[0,1,1]
	v_pk_mul_f16 v8, v8, s4 op_sel_hi:[0,1]
	v_pk_add_f16 v2, v2, v7 op_sel:[0,1]
	v_pk_fma_f16 v8, v23, s30, v8 op_sel_hi:[0,1,1]
	s_mov_b32 s4, 0x34823b47
	v_pk_add_f16 v20, v52, v20
	v_pk_fma_f16 v52, v24, s19, v51 op_sel_hi:[0,1,1] neg_lo:[0,0,1] neg_hi:[0,0,1]
	v_pk_add_f16 v2, v8, v2
	v_pk_mul_f16 v8, v21, s4 op_sel_hi:[0,1]
	v_pk_add_f16 v52, v52, v7 op_sel:[0,1]
	v_pk_fma_f16 v55, v23, s21, v54 op_sel_hi:[0,1,1] neg_lo:[0,0,1] neg_hi:[0,0,1]
	v_pk_mul_f16 v56, v21, s24 op_sel_hi:[0,1]
	v_pk_fma_f16 v8, v22, s31, v8 op_sel_hi:[0,1,1]
	s_mov_b32 s4, 0x3bebb853
	v_mul_f16_e32 v28, 0xbbad, v24
	v_add_f16_e32 v13, v13, v16
	v_pk_mul_f16 v16, v24, s19 op_sel_hi:[0,1]
	v_pk_add_f16 v52, v55, v52
	v_pk_fma_f16 v57, v22, s23, v56 op_sel_hi:[0,1,1] neg_lo:[0,0,1] neg_hi:[0,0,1]
	v_pk_mul_f16 v58, v14, s26 op_sel_hi:[0,1]
	v_pk_add_f16 v2, v8, v2
	v_pk_mul_f16 v8, v14, s4 op_sel_hi:[0,1]
	v_mul_f16_e32 v17, 0x36a6, v19
	v_pk_add_f16 v52, v57, v52
	v_pk_mul_f16 v57, v19, s25 op_sel_hi:[0,1]
	v_pk_fma_f16 v59, v19, s25, v58 op_sel_hi:[0,1,1] neg_lo:[0,0,1] neg_hi:[0,0,1]
	v_pk_fma_f16 v8, v19, s33, v8 op_sel_hi:[0,1,1]
	v_bfi_b32 v16, s6, v28, v16
	v_bfi_b32 v19, s6, v30, v51
	v_mul_f16_e32 v26, 0x3abb, v23
	v_pk_mul_f16 v53, v23, s21 op_sel_hi:[0,1]
	v_pk_add_f16 v16, v16, v19
	v_pk_add_f16 v7, v16, v7 op_sel:[0,1]
	v_bfi_b32 v16, s6, v26, v53
	v_bfi_b32 v19, s6, v29, v54
	v_mul_f16_e32 v27, 0xb93d, v22
	v_pk_mul_f16 v55, v22, s23 op_sel_hi:[0,1]
	v_pk_add_f16 v16, v16, v19
	v_pk_add_f16 v7, v16, v7
	v_bfi_b32 v16, s6, v27, v55
	v_bfi_b32 v19, s6, v50, v56
	s_mov_b32 s4, 0x3853ba0c
	v_pk_add_f16 v16, v16, v19
	v_pk_add_f16 v52, v59, v52
	v_pk_mul_f16 v59, v18, s27 op_sel_hi:[0,1]
	v_pk_mul_f16 v60, v15, s28 op_sel_hi:[0,1]
	v_pk_add_f16 v2, v8, v2
	v_pk_mul_f16 v8, v15, s4 op_sel_hi:[0,1]
	v_mul_f16_e32 v14, 0xb08e, v18
	v_mul_f16_e32 v15, 0xbbeb, v15
	v_pk_add_f16 v7, v16, v7
	v_bfi_b32 v16, s6, v17, v57
	v_bfi_b32 v17, s6, v25, v58
	v_pk_fma_f16 v61, v18, s27, v60 op_sel_hi:[0,1,1] neg_lo:[0,0,1] neg_hi:[0,0,1]
	v_pk_fma_f16 v8, v18, s34, v8 op_sel_hi:[0,1,1]
	v_fma_f16 v18, v18, s35, -v15
	v_pk_add_f16 v16, v16, v17
	v_bfi_b32 v14, s6, v14, v59
	v_bfi_b32 v15, s6, v15, v60
	v_pk_add_f16 v2, v8, v2
	v_pk_add_f16 v8, v61, v52
	v_add_f16_e32 v18, v18, v49
	v_pk_add_f16 v7, v16, v7
	v_pk_add_f16 v14, v14, v15
	;; [unrolled: 1-line block ×3, first 2 shown]
	v_alignbit_b32 v16, v18, v8, 16
	v_alignbit_b32 v15, v8, v20, 16
	v_pack_b32_f16 v14, v48, v20
	s_waitcnt lgkmcnt(0)
	; wave barrier
	s_waitcnt lgkmcnt(0)
	ds_write_b128 v9, v[14:17]
	ds_write_b32 v9, v2 offset:16
	ds_write_b16 v9, v13 offset:20
	s_waitcnt lgkmcnt(0)
	; wave barrier
	s_waitcnt lgkmcnt(0)
	ds_read_u16 v15, v45
	ds_read_u16 v19, v42 offset:22
	ds_read_u16 v20, v42 offset:26
	;; [unrolled: 1-line block ×5, first 2 shown]
	ds_read_u16 v16, v43
	ds_read_u16 v17, v44
	ds_read_u16 v18, v46
	ds_read_u16 v22, v47
	v_mov_b32_e32 v8, 0
	v_mov_b32_e32 v9, 0
                                        ; implicit-def: $vgpr14
	s_and_saveexec_b64 s[4:5], s[0:1]
	s_cbranch_execz .LBB0_17
; %bb.16:
	ds_read_u16 v13, v41 offset:20
	ds_read_u16 v14, v41 offset:42
	v_mov_b32_e32 v8, 10
	v_mov_b32_e32 v9, 0
.LBB0_17:
	s_or_b64 exec, exec, s[4:5]
	s_and_saveexec_b64 s[4:5], vcc
	s_cbranch_execz .LBB0_20
; %bb.18:
	v_mov_b32_e32 v2, 0
	v_lshlrev_b64 v[25:26], 2, v[1:2]
	v_mov_b32_e32 v7, v2
	v_mov_b32_e32 v9, s9
	v_add_co_u32_e32 v25, vcc, s8, v25
	v_lshlrev_b64 v[6:7], 2, v[6:7]
	v_addc_co_u32_e32 v26, vcc, v9, v26, vcc
	v_add_co_u32_e32 v27, vcc, s8, v6
	v_mov_b32_e32 v6, v2
	v_lshlrev_b64 v[5:6], 2, v[5:6]
	v_addc_co_u32_e32 v28, vcc, v9, v7, vcc
	v_mov_b32_e32 v1, v2
	v_add_co_u32_e32 v5, vcc, s8, v5
	v_lshlrev_b64 v[0:1], 2, v[0:1]
	v_addc_co_u32_e32 v6, vcc, v9, v6, vcc
	v_add_co_u32_e32 v0, vcc, s8, v0
	v_addc_co_u32_e32 v1, vcc, v9, v1, vcc
	global_load_dword v7, v[25:26], off
	global_load_dword v29, v[27:28], off
	;; [unrolled: 1-line block ×3, first 2 shown]
	s_nop 0
	global_load_dword v5, v[0:1], off
	global_load_dword v6, v10, s[8:9]
	v_mov_b32_e32 v1, s3
	v_add_co_u32_e32 v0, vcc, s2, v3
	v_addc_co_u32_e32 v1, vcc, v1, v4, vcc
	v_add_co_u32_e32 v2, vcc, v0, v10
	v_addc_co_u32_e32 v3, vcc, 0, v1, vcc
	s_waitcnt vmcnt(4)
	v_lshrrev_b32_e32 v4, 16, v7
	v_mul_f16_e32 v9, v40, v7
	s_waitcnt lgkmcnt(4)
	v_fma_f16 v9, v24, v4, v9
	v_mul_f16_e32 v4, v40, v4
	s_waitcnt vmcnt(3)
	v_lshrrev_b32_e32 v10, 16, v29
	v_mul_f16_e32 v25, v38, v29
	s_waitcnt vmcnt(2)
	v_lshrrev_b32_e32 v26, 16, v30
	;; [unrolled: 3-line block ×3, first 2 shown]
	s_waitcnt vmcnt(0)
	v_lshrrev_b32_e32 v41, 16, v6
	v_mul_f16_e32 v40, v36, v5
	v_mul_f16_e32 v42, v35, v6
	v_fma_f16 v4, v24, v7, -v4
	v_fma_f16 v7, v23, v10, v25
	v_fma_f16 v24, v21, v26, v27
	v_mul_f16_e32 v25, v37, v26
	v_mul_f16_e32 v27, v36, v28
	;; [unrolled: 1-line block ×4, first 2 shown]
	v_fma_f16 v26, v20, v28, v40
	v_fma_f16 v28, v19, v41, v42
	v_fma_f16 v21, v21, v30, -v25
	v_fma_f16 v5, v20, v5, -v27
	;; [unrolled: 1-line block ×4, first 2 shown]
	v_sub_f16_e32 v23, v33, v24
	v_sub_f16_e32 v24, v32, v26
	;; [unrolled: 1-line block ×3, first 2 shown]
	s_waitcnt lgkmcnt(2)
	v_sub_f16_e32 v21, v17, v21
	v_sub_f16_e32 v5, v16, v5
	;; [unrolled: 1-line block ×3, first 2 shown]
	v_fma_f16 v25, v33, 2.0, -v23
	v_fma_f16 v26, v32, 2.0, -v24
	;; [unrolled: 1-line block ×6, first 2 shown]
	v_pack_b32_f16 v6, v20, v6
	v_pack_b32_f16 v5, v24, v5
	s_waitcnt lgkmcnt(0)
	v_sub_f16_e32 v4, v22, v4
	v_sub_f16_e32 v7, v34, v7
	;; [unrolled: 1-line block ×3, first 2 shown]
	v_pack_b32_f16 v15, v27, v15
	global_store_dword v[2:3], v6, off offset:44
	v_pack_b32_f16 v6, v26, v16
	global_store_dword v[2:3], v5, off offset:52
	global_store_dword v[2:3], v15, off
	global_store_dword v[2:3], v6, off offset:8
	v_pack_b32_f16 v5, v25, v17
	v_fma_f16 v19, v22, 2.0, -v4
	v_fma_f16 v22, v34, 2.0, -v7
	;; [unrolled: 1-line block ×3, first 2 shown]
	global_store_dword v[2:3], v5, off offset:16
	v_pack_b32_f16 v5, v23, v21
	v_sub_f16_e32 v9, v39, v9
	global_store_dword v[2:3], v5, off offset:60
	v_pack_b32_f16 v5, v22, v18
	v_fma_f16 v36, v39, 2.0, -v9
	global_store_dword v[2:3], v5, off offset:24
	v_pack_b32_f16 v5, v7, v10
	global_store_dword v[2:3], v5, off offset:68
	v_pack_b32_f16 v5, v36, v19
	v_pack_b32_f16 v4, v9, v4
	global_store_dword v[2:3], v5, off offset:32
	global_store_dword v[2:3], v4, off offset:76
	s_and_b64 exec, exec, s[0:1]
	s_cbranch_execz .LBB0_20
; %bb.19:
	v_lshlrev_b32_e32 v2, 2, v8
	global_load_dword v2, v2, s[8:9]
	s_waitcnt vmcnt(0)
	v_mul_f16_sdwa v3, v14, v2 dst_sel:DWORD dst_unused:UNUSED_PAD src0_sel:DWORD src1_sel:WORD_1
	v_mul_f16_sdwa v4, v11, v2 dst_sel:DWORD dst_unused:UNUSED_PAD src0_sel:DWORD src1_sel:WORD_1
	v_fma_f16 v3, v11, v2, v3
	v_fma_f16 v2, v14, v2, -v4
	v_sub_f16_e32 v3, v12, v3
	v_sub_f16_e32 v2, v13, v2
	v_fma_f16 v4, v12, 2.0, -v3
	v_fma_f16 v5, v13, 2.0, -v2
	v_pack_b32_f16 v2, v3, v2
	v_pack_b32_f16 v3, v4, v5
	global_store_dword v[0:1], v3, off offset:40
	global_store_dword v[0:1], v2, off offset:84
.LBB0_20:
	s_endpgm
	.section	.rodata,"a",@progbits
	.p2align	6, 0x0
	.amdhsa_kernel fft_rtc_back_len22_factors_11_2_wgs_64_tpt_2_halfLds_half_ip_CI_unitstride_sbrr_dirReg
		.amdhsa_group_segment_fixed_size 0
		.amdhsa_private_segment_fixed_size 0
		.amdhsa_kernarg_size 88
		.amdhsa_user_sgpr_count 6
		.amdhsa_user_sgpr_private_segment_buffer 1
		.amdhsa_user_sgpr_dispatch_ptr 0
		.amdhsa_user_sgpr_queue_ptr 0
		.amdhsa_user_sgpr_kernarg_segment_ptr 1
		.amdhsa_user_sgpr_dispatch_id 0
		.amdhsa_user_sgpr_flat_scratch_init 0
		.amdhsa_user_sgpr_private_segment_size 0
		.amdhsa_uses_dynamic_stack 0
		.amdhsa_system_sgpr_private_segment_wavefront_offset 0
		.amdhsa_system_sgpr_workgroup_id_x 1
		.amdhsa_system_sgpr_workgroup_id_y 0
		.amdhsa_system_sgpr_workgroup_id_z 0
		.amdhsa_system_sgpr_workgroup_info 0
		.amdhsa_system_vgpr_workitem_id 0
		.amdhsa_next_free_vgpr 62
		.amdhsa_next_free_sgpr 40
		.amdhsa_reserve_vcc 1
		.amdhsa_reserve_flat_scratch 0
		.amdhsa_float_round_mode_32 0
		.amdhsa_float_round_mode_16_64 0
		.amdhsa_float_denorm_mode_32 3
		.amdhsa_float_denorm_mode_16_64 3
		.amdhsa_dx10_clamp 1
		.amdhsa_ieee_mode 1
		.amdhsa_fp16_overflow 0
		.amdhsa_exception_fp_ieee_invalid_op 0
		.amdhsa_exception_fp_denorm_src 0
		.amdhsa_exception_fp_ieee_div_zero 0
		.amdhsa_exception_fp_ieee_overflow 0
		.amdhsa_exception_fp_ieee_underflow 0
		.amdhsa_exception_fp_ieee_inexact 0
		.amdhsa_exception_int_div_zero 0
	.end_amdhsa_kernel
	.text
.Lfunc_end0:
	.size	fft_rtc_back_len22_factors_11_2_wgs_64_tpt_2_halfLds_half_ip_CI_unitstride_sbrr_dirReg, .Lfunc_end0-fft_rtc_back_len22_factors_11_2_wgs_64_tpt_2_halfLds_half_ip_CI_unitstride_sbrr_dirReg
                                        ; -- End function
	.section	.AMDGPU.csdata,"",@progbits
; Kernel info:
; codeLenInByte = 4588
; NumSgprs: 44
; NumVgprs: 62
; ScratchSize: 0
; MemoryBound: 0
; FloatMode: 240
; IeeeMode: 1
; LDSByteSize: 0 bytes/workgroup (compile time only)
; SGPRBlocks: 5
; VGPRBlocks: 15
; NumSGPRsForWavesPerEU: 44
; NumVGPRsForWavesPerEU: 62
; Occupancy: 4
; WaveLimiterHint : 1
; COMPUTE_PGM_RSRC2:SCRATCH_EN: 0
; COMPUTE_PGM_RSRC2:USER_SGPR: 6
; COMPUTE_PGM_RSRC2:TRAP_HANDLER: 0
; COMPUTE_PGM_RSRC2:TGID_X_EN: 1
; COMPUTE_PGM_RSRC2:TGID_Y_EN: 0
; COMPUTE_PGM_RSRC2:TGID_Z_EN: 0
; COMPUTE_PGM_RSRC2:TIDIG_COMP_CNT: 0
	.type	__hip_cuid_1d6511cd551976b2,@object ; @__hip_cuid_1d6511cd551976b2
	.section	.bss,"aw",@nobits
	.globl	__hip_cuid_1d6511cd551976b2
__hip_cuid_1d6511cd551976b2:
	.byte	0                               ; 0x0
	.size	__hip_cuid_1d6511cd551976b2, 1

	.ident	"AMD clang version 19.0.0git (https://github.com/RadeonOpenCompute/llvm-project roc-6.4.0 25133 c7fe45cf4b819c5991fe208aaa96edf142730f1d)"
	.section	".note.GNU-stack","",@progbits
	.addrsig
	.addrsig_sym __hip_cuid_1d6511cd551976b2
	.amdgpu_metadata
---
amdhsa.kernels:
  - .args:
      - .actual_access:  read_only
        .address_space:  global
        .offset:         0
        .size:           8
        .value_kind:     global_buffer
      - .offset:         8
        .size:           8
        .value_kind:     by_value
      - .actual_access:  read_only
        .address_space:  global
        .offset:         16
        .size:           8
        .value_kind:     global_buffer
      - .actual_access:  read_only
        .address_space:  global
        .offset:         24
        .size:           8
        .value_kind:     global_buffer
      - .offset:         32
        .size:           8
        .value_kind:     by_value
      - .actual_access:  read_only
        .address_space:  global
        .offset:         40
        .size:           8
        .value_kind:     global_buffer
      - .actual_access:  read_only
        .address_space:  global
        .offset:         48
        .size:           8
        .value_kind:     global_buffer
      - .offset:         56
        .size:           4
        .value_kind:     by_value
      - .actual_access:  read_only
        .address_space:  global
        .offset:         64
        .size:           8
        .value_kind:     global_buffer
      - .actual_access:  read_only
        .address_space:  global
        .offset:         72
        .size:           8
        .value_kind:     global_buffer
      - .address_space:  global
        .offset:         80
        .size:           8
        .value_kind:     global_buffer
    .group_segment_fixed_size: 0
    .kernarg_segment_align: 8
    .kernarg_segment_size: 88
    .language:       OpenCL C
    .language_version:
      - 2
      - 0
    .max_flat_workgroup_size: 64
    .name:           fft_rtc_back_len22_factors_11_2_wgs_64_tpt_2_halfLds_half_ip_CI_unitstride_sbrr_dirReg
    .private_segment_fixed_size: 0
    .sgpr_count:     44
    .sgpr_spill_count: 0
    .symbol:         fft_rtc_back_len22_factors_11_2_wgs_64_tpt_2_halfLds_half_ip_CI_unitstride_sbrr_dirReg.kd
    .uniform_work_group_size: 1
    .uses_dynamic_stack: false
    .vgpr_count:     62
    .vgpr_spill_count: 0
    .wavefront_size: 64
amdhsa.target:   amdgcn-amd-amdhsa--gfx906
amdhsa.version:
  - 1
  - 2
...

	.end_amdgpu_metadata
